;; amdgpu-corpus repo=ROCm/rocFFT kind=compiled arch=gfx1030 opt=O3
	.text
	.amdgcn_target "amdgcn-amd-amdhsa--gfx1030"
	.amdhsa_code_object_version 6
	.protected	fft_rtc_fwd_len1764_factors_2_2_3_3_7_7_wgs_126_tpt_126_halfLds_half_op_CI_CI_unitstride_sbrr_dirReg ; -- Begin function fft_rtc_fwd_len1764_factors_2_2_3_3_7_7_wgs_126_tpt_126_halfLds_half_op_CI_CI_unitstride_sbrr_dirReg
	.globl	fft_rtc_fwd_len1764_factors_2_2_3_3_7_7_wgs_126_tpt_126_halfLds_half_op_CI_CI_unitstride_sbrr_dirReg
	.p2align	8
	.type	fft_rtc_fwd_len1764_factors_2_2_3_3_7_7_wgs_126_tpt_126_halfLds_half_op_CI_CI_unitstride_sbrr_dirReg,@function
fft_rtc_fwd_len1764_factors_2_2_3_3_7_7_wgs_126_tpt_126_halfLds_half_op_CI_CI_unitstride_sbrr_dirReg: ; @fft_rtc_fwd_len1764_factors_2_2_3_3_7_7_wgs_126_tpt_126_halfLds_half_op_CI_CI_unitstride_sbrr_dirReg
; %bb.0:
	s_clause 0x2
	s_load_dwordx4 s[12:15], s[4:5], 0x0
	s_load_dwordx4 s[8:11], s[4:5], 0x58
	;; [unrolled: 1-line block ×3, first 2 shown]
	v_mul_u32_u24_e32 v1, 0x209, v0
	v_mov_b32_e32 v7, 0
	v_mov_b32_e32 v5, 0
	;; [unrolled: 1-line block ×3, first 2 shown]
	v_add_nc_u32_sdwa v9, s6, v1 dst_sel:DWORD dst_unused:UNUSED_PAD src0_sel:DWORD src1_sel:WORD_1
	v_mov_b32_e32 v10, v7
	s_waitcnt lgkmcnt(0)
	v_cmp_lt_u64_e64 s0, s[14:15], 2
	s_and_b32 vcc_lo, exec_lo, s0
	s_cbranch_vccnz .LBB0_8
; %bb.1:
	s_load_dwordx2 s[0:1], s[4:5], 0x10
	v_mov_b32_e32 v5, 0
	v_mov_b32_e32 v6, 0
	s_add_u32 s2, s18, 8
	s_addc_u32 s3, s19, 0
	v_mov_b32_e32 v1, v5
	s_add_u32 s6, s16, 8
	v_mov_b32_e32 v2, v6
	s_addc_u32 s7, s17, 0
	s_mov_b64 s[22:23], 1
	s_waitcnt lgkmcnt(0)
	s_add_u32 s20, s0, 8
	s_addc_u32 s21, s1, 0
.LBB0_2:                                ; =>This Inner Loop Header: Depth=1
	s_load_dwordx2 s[24:25], s[20:21], 0x0
                                        ; implicit-def: $vgpr3_vgpr4
	s_mov_b32 s0, exec_lo
	s_waitcnt lgkmcnt(0)
	v_or_b32_e32 v8, s25, v10
	v_cmpx_ne_u64_e32 0, v[7:8]
	s_xor_b32 s1, exec_lo, s0
	s_cbranch_execz .LBB0_4
; %bb.3:                                ;   in Loop: Header=BB0_2 Depth=1
	v_cvt_f32_u32_e32 v3, s24
	v_cvt_f32_u32_e32 v4, s25
	s_sub_u32 s0, 0, s24
	s_subb_u32 s26, 0, s25
	v_fmac_f32_e32 v3, 0x4f800000, v4
	v_rcp_f32_e32 v3, v3
	v_mul_f32_e32 v3, 0x5f7ffffc, v3
	v_mul_f32_e32 v4, 0x2f800000, v3
	v_trunc_f32_e32 v4, v4
	v_fmac_f32_e32 v3, 0xcf800000, v4
	v_cvt_u32_f32_e32 v4, v4
	v_cvt_u32_f32_e32 v3, v3
	v_mul_lo_u32 v8, s0, v4
	v_mul_hi_u32 v11, s0, v3
	v_mul_lo_u32 v12, s26, v3
	v_add_nc_u32_e32 v8, v11, v8
	v_mul_lo_u32 v11, s0, v3
	v_add_nc_u32_e32 v8, v8, v12
	v_mul_hi_u32 v12, v3, v11
	v_mul_lo_u32 v13, v3, v8
	v_mul_hi_u32 v14, v3, v8
	v_mul_hi_u32 v15, v4, v11
	v_mul_lo_u32 v11, v4, v11
	v_mul_hi_u32 v16, v4, v8
	v_mul_lo_u32 v8, v4, v8
	v_add_co_u32 v12, vcc_lo, v12, v13
	v_add_co_ci_u32_e32 v13, vcc_lo, 0, v14, vcc_lo
	v_add_co_u32 v11, vcc_lo, v12, v11
	v_add_co_ci_u32_e32 v11, vcc_lo, v13, v15, vcc_lo
	v_add_co_ci_u32_e32 v12, vcc_lo, 0, v16, vcc_lo
	v_add_co_u32 v8, vcc_lo, v11, v8
	v_add_co_ci_u32_e32 v11, vcc_lo, 0, v12, vcc_lo
	v_add_co_u32 v3, vcc_lo, v3, v8
	v_add_co_ci_u32_e32 v4, vcc_lo, v4, v11, vcc_lo
	v_mul_hi_u32 v8, s0, v3
	v_mul_lo_u32 v12, s26, v3
	v_mul_lo_u32 v11, s0, v4
	v_add_nc_u32_e32 v8, v8, v11
	v_mul_lo_u32 v11, s0, v3
	v_add_nc_u32_e32 v8, v8, v12
	v_mul_hi_u32 v12, v3, v11
	v_mul_lo_u32 v13, v3, v8
	v_mul_hi_u32 v14, v3, v8
	v_mul_hi_u32 v15, v4, v11
	v_mul_lo_u32 v11, v4, v11
	v_mul_hi_u32 v16, v4, v8
	v_mul_lo_u32 v8, v4, v8
	v_add_co_u32 v12, vcc_lo, v12, v13
	v_add_co_ci_u32_e32 v13, vcc_lo, 0, v14, vcc_lo
	v_add_co_u32 v11, vcc_lo, v12, v11
	v_add_co_ci_u32_e32 v11, vcc_lo, v13, v15, vcc_lo
	v_add_co_ci_u32_e32 v12, vcc_lo, 0, v16, vcc_lo
	v_add_co_u32 v8, vcc_lo, v11, v8
	v_add_co_ci_u32_e32 v11, vcc_lo, 0, v12, vcc_lo
	v_add_co_u32 v8, vcc_lo, v3, v8
	v_add_co_ci_u32_e32 v13, vcc_lo, v4, v11, vcc_lo
	v_mul_hi_u32 v15, v9, v8
	v_mad_u64_u32 v[11:12], null, v10, v8, 0
	v_mad_u64_u32 v[3:4], null, v9, v13, 0
	;; [unrolled: 1-line block ×3, first 2 shown]
	v_add_co_u32 v3, vcc_lo, v15, v3
	v_add_co_ci_u32_e32 v4, vcc_lo, 0, v4, vcc_lo
	v_add_co_u32 v3, vcc_lo, v3, v11
	v_add_co_ci_u32_e32 v3, vcc_lo, v4, v12, vcc_lo
	v_add_co_ci_u32_e32 v4, vcc_lo, 0, v14, vcc_lo
	v_add_co_u32 v8, vcc_lo, v3, v13
	v_add_co_ci_u32_e32 v11, vcc_lo, 0, v4, vcc_lo
	v_mul_lo_u32 v12, s25, v8
	v_mad_u64_u32 v[3:4], null, s24, v8, 0
	v_mul_lo_u32 v13, s24, v11
	v_sub_co_u32 v3, vcc_lo, v9, v3
	v_add3_u32 v4, v4, v13, v12
	v_sub_nc_u32_e32 v12, v10, v4
	v_subrev_co_ci_u32_e64 v12, s0, s25, v12, vcc_lo
	v_add_co_u32 v13, s0, v8, 2
	v_add_co_ci_u32_e64 v14, s0, 0, v11, s0
	v_sub_co_u32 v15, s0, v3, s24
	v_sub_co_ci_u32_e32 v4, vcc_lo, v10, v4, vcc_lo
	v_subrev_co_ci_u32_e64 v12, s0, 0, v12, s0
	v_cmp_le_u32_e32 vcc_lo, s24, v15
	v_cmp_eq_u32_e64 s0, s25, v4
	v_cndmask_b32_e64 v15, 0, -1, vcc_lo
	v_cmp_le_u32_e32 vcc_lo, s25, v12
	v_cndmask_b32_e64 v16, 0, -1, vcc_lo
	v_cmp_le_u32_e32 vcc_lo, s24, v3
	;; [unrolled: 2-line block ×3, first 2 shown]
	v_cndmask_b32_e64 v17, 0, -1, vcc_lo
	v_cmp_eq_u32_e32 vcc_lo, s25, v12
	v_cndmask_b32_e64 v3, v17, v3, s0
	v_cndmask_b32_e32 v12, v16, v15, vcc_lo
	v_add_co_u32 v15, vcc_lo, v8, 1
	v_add_co_ci_u32_e32 v16, vcc_lo, 0, v11, vcc_lo
	v_cmp_ne_u32_e32 vcc_lo, 0, v12
	v_cndmask_b32_e32 v4, v16, v14, vcc_lo
	v_cndmask_b32_e32 v12, v15, v13, vcc_lo
	v_cmp_ne_u32_e32 vcc_lo, 0, v3
	v_cndmask_b32_e32 v4, v11, v4, vcc_lo
	v_cndmask_b32_e32 v3, v8, v12, vcc_lo
.LBB0_4:                                ;   in Loop: Header=BB0_2 Depth=1
	s_andn2_saveexec_b32 s0, s1
	s_cbranch_execz .LBB0_6
; %bb.5:                                ;   in Loop: Header=BB0_2 Depth=1
	v_cvt_f32_u32_e32 v3, s24
	s_sub_i32 s1, 0, s24
	v_rcp_iflag_f32_e32 v3, v3
	v_mul_f32_e32 v3, 0x4f7ffffe, v3
	v_cvt_u32_f32_e32 v3, v3
	v_mul_lo_u32 v4, s1, v3
	v_mul_hi_u32 v4, v3, v4
	v_add_nc_u32_e32 v3, v3, v4
	v_mul_hi_u32 v3, v9, v3
	v_mul_lo_u32 v4, v3, s24
	v_add_nc_u32_e32 v8, 1, v3
	v_sub_nc_u32_e32 v4, v9, v4
	v_subrev_nc_u32_e32 v11, s24, v4
	v_cmp_le_u32_e32 vcc_lo, s24, v4
	v_cndmask_b32_e32 v4, v4, v11, vcc_lo
	v_cndmask_b32_e32 v3, v3, v8, vcc_lo
	v_cmp_le_u32_e32 vcc_lo, s24, v4
	v_add_nc_u32_e32 v8, 1, v3
	v_mov_b32_e32 v4, v7
	v_cndmask_b32_e32 v3, v3, v8, vcc_lo
.LBB0_6:                                ;   in Loop: Header=BB0_2 Depth=1
	s_or_b32 exec_lo, exec_lo, s0
	v_mul_lo_u32 v8, v4, s24
	v_mul_lo_u32 v13, v3, s25
	s_load_dwordx2 s[0:1], s[6:7], 0x0
	v_mad_u64_u32 v[11:12], null, v3, s24, 0
	s_load_dwordx2 s[24:25], s[2:3], 0x0
	s_add_u32 s22, s22, 1
	s_addc_u32 s23, s23, 0
	s_add_u32 s2, s2, 8
	s_addc_u32 s3, s3, 0
	s_add_u32 s6, s6, 8
	v_add3_u32 v8, v12, v13, v8
	v_sub_co_u32 v9, vcc_lo, v9, v11
	s_addc_u32 s7, s7, 0
	s_add_u32 s20, s20, 8
	v_sub_co_ci_u32_e32 v8, vcc_lo, v10, v8, vcc_lo
	s_addc_u32 s21, s21, 0
	s_waitcnt lgkmcnt(0)
	v_mul_lo_u32 v10, s0, v8
	v_mul_lo_u32 v11, s1, v9
	v_mad_u64_u32 v[5:6], null, s0, v9, v[5:6]
	v_mul_lo_u32 v8, s24, v8
	v_mul_lo_u32 v12, s25, v9
	v_mad_u64_u32 v[1:2], null, s24, v9, v[1:2]
	v_cmp_ge_u64_e64 s0, s[22:23], s[14:15]
	v_add3_u32 v6, v11, v6, v10
	v_add3_u32 v2, v12, v2, v8
	s_and_b32 vcc_lo, exec_lo, s0
	s_cbranch_vccnz .LBB0_9
; %bb.7:                                ;   in Loop: Header=BB0_2 Depth=1
	v_mov_b32_e32 v10, v4
	v_mov_b32_e32 v9, v3
	s_branch .LBB0_2
.LBB0_8:
	v_mov_b32_e32 v1, v5
	v_mov_b32_e32 v3, v9
	;; [unrolled: 1-line block ×4, first 2 shown]
.LBB0_9:
	s_load_dwordx2 s[0:1], s[4:5], 0x28
	v_mul_hi_u32 v28, 0x2082083, v0
	s_lshl_b64 s[4:5], s[14:15], 3
                                        ; implicit-def: $sgpr6
                                        ; implicit-def: $vgpr7
	s_add_u32 s2, s18, s4
	s_addc_u32 s3, s19, s5
	s_waitcnt lgkmcnt(0)
	v_cmp_gt_u64_e32 vcc_lo, s[0:1], v[3:4]
	v_cmp_le_u64_e64 s0, s[0:1], v[3:4]
	s_and_saveexec_b32 s1, s0
	s_xor_b32 s0, exec_lo, s1
; %bb.10:
	v_mul_u32_u24_e32 v5, 0x7e, v28
	s_mov_b32 s6, 0
                                        ; implicit-def: $vgpr28
	v_sub_nc_u32_e32 v7, v0, v5
                                        ; implicit-def: $vgpr0
                                        ; implicit-def: $vgpr5_vgpr6
; %bb.11:
	s_or_saveexec_b32 s1, s0
	v_mov_b32_e32 v10, s6
	v_mov_b32_e32 v20, s6
	;; [unrolled: 1-line block ×7, first 2 shown]
                                        ; implicit-def: $vgpr29
                                        ; implicit-def: $vgpr24
                                        ; implicit-def: $vgpr27
                                        ; implicit-def: $vgpr23
                                        ; implicit-def: $vgpr26
                                        ; implicit-def: $vgpr22
                                        ; implicit-def: $vgpr25
                                        ; implicit-def: $vgpr17
                                        ; implicit-def: $vgpr21
                                        ; implicit-def: $vgpr16
                                        ; implicit-def: $vgpr18
                                        ; implicit-def: $vgpr12
                                        ; implicit-def: $vgpr19
                                        ; implicit-def: $vgpr13
	s_xor_b32 exec_lo, exec_lo, s1
	s_cbranch_execz .LBB0_13
; %bb.12:
	s_add_u32 s4, s16, s4
	s_addc_u32 s5, s17, s5
	v_lshlrev_b64 v[5:6], 2, v[5:6]
	s_load_dwordx2 s[4:5], s[4:5], 0x0
	s_waitcnt lgkmcnt(0)
	v_mul_lo_u32 v9, s5, v3
	v_mul_lo_u32 v10, s4, v4
	v_mad_u64_u32 v[7:8], null, s4, v3, 0
	v_add3_u32 v8, v8, v10, v9
	v_mul_u32_u24_e32 v10, 0x7e, v28
	v_lshlrev_b64 v[8:9], 2, v[7:8]
	v_sub_nc_u32_e32 v7, v0, v10
	v_add_co_u32 v0, s0, s8, v8
	v_add_co_ci_u32_e64 v8, s0, s9, v9, s0
	v_lshlrev_b32_e32 v9, 2, v7
	v_add_co_u32 v0, s0, v0, v5
	v_add_co_ci_u32_e64 v6, s0, v8, v6, s0
	v_add_co_u32 v5, s0, v0, v9
	v_add_co_ci_u32_e64 v6, s0, 0, v6, s0
	;; [unrolled: 2-line block ×5, first 2 shown]
	s_clause 0xd
	global_load_dword v24, v[18:19], off offset:1480
	global_load_dword v23, v[18:19], off offset:1984
	global_load_dword v22, v[8:9], off offset:440
	global_load_dword v17, v[8:9], off offset:944
	global_load_dword v16, v[8:9], off offset:1448
	global_load_dword v12, v[8:9], off offset:1952
	global_load_dword v13, v[10:11], off offset:408
	global_load_dword v10, v[5:6], off
	global_load_dword v20, v[5:6], off offset:504
	global_load_dword v15, v[5:6], off offset:1008
	;; [unrolled: 1-line block ×6, first 2 shown]
	s_waitcnt vmcnt(13)
	v_lshrrev_b32_e32 v29, 16, v24
	s_waitcnt vmcnt(12)
	v_lshrrev_b32_e32 v27, 16, v23
	;; [unrolled: 2-line block ×7, first 2 shown]
.LBB0_13:
	s_or_b32 exec_lo, exec_lo, s1
	s_waitcnt vmcnt(5)
	v_lshrrev_b32_e32 v5, 16, v20
	s_waitcnt vmcnt(4)
	v_lshrrev_b32_e32 v6, 16, v15
	v_lshrrev_b32_e32 v0, 16, v10
	v_sub_f16_e32 v24, v10, v24
	v_sub_f16_e32 v23, v20, v23
	v_sub_f16_e32 v27, v5, v27
	v_sub_f16_e32 v26, v6, v26
	v_sub_f16_e32 v28, v0, v29
	v_sub_f16_e32 v22, v15, v22
	v_fma_f16 v10, v10, 2.0, -v24
	v_fma_f16 v30, v5, 2.0, -v27
	s_waitcnt vmcnt(2)
	v_lshrrev_b32_e32 v5, 16, v11
	v_fma_f16 v32, v6, 2.0, -v26
	s_waitcnt vmcnt(1)
	v_lshrrev_b32_e32 v6, 16, v8
	s_waitcnt vmcnt(0)
	v_sub_f16_e32 v13, v9, v13
	v_fma_f16 v29, v0, 2.0, -v28
	v_sub_f16_e32 v33, v5, v21
	v_fma_f16 v0, v20, 2.0, -v23
	;; [unrolled: 2-line block ×4, first 2 shown]
	v_add_nc_u32_e32 v5, 0x7e, v7
	v_fma_f16 v35, v6, 2.0, -v18
	v_add_nc_u32_e32 v6, 0xfc, v7
	v_sub_f16_e32 v12, v8, v12
	v_sub_f16_e32 v16, v11, v16
	v_lshrrev_b32_e32 v21, 16, v9
	v_fma_f16 v36, v9, 2.0, -v13
	v_lshl_add_u32 v38, v7, 2, 0
	v_pack_b32_f16 v9, v10, v24
	v_lshl_add_u32 v10, v5, 2, 0
	v_pack_b32_f16 v0, v0, v23
	;; [unrolled: 2-line block ×3, first 2 shown]
	v_lshrrev_b32_e32 v20, 16, v14
	v_fma_f16 v14, v14, 2.0, -v17
	v_fma_f16 v31, v8, 2.0, -v12
	v_add_nc_u32_e32 v8, 0x17a, v7
	s_load_dwordx2 s[2:3], s[2:3], 0x0
	v_fma_f16 v11, v11, 2.0, -v16
	ds_write_b32 v38, v9
	ds_write_b32 v10, v0
	;; [unrolled: 1-line block ×3, first 2 shown]
	v_add_nc_u32_e32 v9, 0x1f8, v7
	v_add_nc_u32_e32 v41, 0x276, v7
	v_sub_f16_e32 v25, v20, v25
	v_lshlrev_b32_e32 v39, 1, v7
	v_lshl_add_u32 v40, v8, 2, 0
	v_pack_b32_f16 v0, v14, v17
	v_add_nc_u32_e32 v17, 0x2f4, v7
	v_lshl_add_u32 v42, v9, 2, 0
	v_pack_b32_f16 v11, v11, v16
	v_lshl_add_u32 v16, v41, 2, 0
	v_pack_b32_f16 v12, v31, v12
	v_fma_f16 v20, v20, 2.0, -v25
	v_sub_f16_e32 v19, v21, v19
	v_lshl_add_u32 v43, v17, 2, 0
	v_pack_b32_f16 v13, v36, v13
	ds_write_b32 v40, v0
	ds_write_b32 v42, v11
	;; [unrolled: 1-line block ×3, first 2 shown]
	v_sub_nc_u32_e32 v0, v38, v39
	v_pack_b32_f16 v12, v29, v28
	v_pack_b32_f16 v27, v30, v27
	;; [unrolled: 1-line block ×3, first 2 shown]
	v_fma_f16 v37, v21, 2.0, -v19
	ds_write_b32 v43, v13
	s_waitcnt lgkmcnt(0)
	s_barrier
	buffer_gl0_inv
	ds_read_u16 v13, v0
	ds_read_u16 v54, v0 offset:252
	ds_read_u16 v55, v0 offset:504
	;; [unrolled: 1-line block ×13, first 2 shown]
	s_waitcnt lgkmcnt(0)
	s_barrier
	buffer_gl0_inv
	ds_write_b32 v38, v12
	ds_write_b32 v10, v27
	;; [unrolled: 1-line block ×3, first 2 shown]
	v_pack_b32_f16 v10, v20, v25
	v_and_b32_e32 v20, 1, v7
	v_pack_b32_f16 v12, v34, v33
	v_pack_b32_f16 v18, v35, v18
	;; [unrolled: 1-line block ×3, first 2 shown]
	ds_write_b32 v40, v10
	ds_write_b32 v42, v12
	;; [unrolled: 1-line block ×3, first 2 shown]
	v_lshlrev_b32_e32 v10, 2, v20
	v_lshlrev_b32_e32 v12, 1, v6
	ds_write_b32 v43, v19
	s_waitcnt lgkmcnt(0)
	s_barrier
	buffer_gl0_inv
	global_load_dword v32, v10, s[12:13]
	ds_read_u16 v51, v0 offset:1764
	ds_read_u16 v52, v0 offset:2016
	;; [unrolled: 1-line block ×7, first 2 shown]
	v_lshlrev_b32_e32 v10, 1, v5
	v_and_or_b32 v16, 0xfc, v39, v20
	v_lshlrev_b32_e32 v18, 1, v8
	v_lshlrev_b32_e32 v19, 1, v9
	;; [unrolled: 1-line block ×4, first 2 shown]
	v_and_or_b32 v10, 0x1fc, v10, v20
	v_and_or_b32 v12, 0x3fc, v12, v20
	v_lshl_add_u32 v33, v16, 1, 0
	v_and_or_b32 v16, 0x3fc, v18, v20
	v_and_or_b32 v18, 0x7fc, v19, v20
	;; [unrolled: 1-line block ×4, first 2 shown]
	v_lshl_add_u32 v36, v10, 1, 0
	v_lshl_add_u32 v35, v12, 1, 0
	;; [unrolled: 1-line block ×6, first 2 shown]
	ds_read_u16 v48, v0
	ds_read_u16 v49, v0 offset:252
	ds_read_u16 v40, v0 offset:504
	;; [unrolled: 1-line block ×6, first 2 shown]
	s_waitcnt vmcnt(0) lgkmcnt(0)
	s_barrier
	buffer_gl0_inv
	v_cmp_gt_u32_e64 s0, 0x54, v7
	v_mul_f16_sdwa v10, v51, v32 dst_sel:DWORD dst_unused:UNUSED_PAD src0_sel:DWORD src1_sel:WORD_1
	v_mul_f16_sdwa v12, v52, v32 dst_sel:DWORD dst_unused:UNUSED_PAD src0_sel:DWORD src1_sel:WORD_1
	;; [unrolled: 1-line block ×7, first 2 shown]
	v_fma_f16 v10, v23, v32, -v10
	v_fma_f16 v12, v31, v32, -v12
	;; [unrolled: 1-line block ×7, first 2 shown]
	v_sub_f16_e32 v24, v13, v10
	v_sub_f16_e32 v25, v54, v12
	v_sub_f16_e32 v16, v55, v16
	v_sub_f16_e32 v17, v56, v17
	v_sub_f16_e32 v18, v57, v18
	v_sub_f16_e32 v19, v58, v19
	v_sub_f16_e32 v12, v59, v20
	v_fma_f16 v13, v13, 2.0, -v24
	v_fma_f16 v20, v54, 2.0, -v25
	;; [unrolled: 1-line block ×7, first 2 shown]
	ds_write_b16 v33, v24 offset:4
	ds_write_b16 v33, v13
	ds_write_b16 v36, v20
	ds_write_b16 v36, v25 offset:4
	ds_write_b16 v35, v26
	ds_write_b16 v35, v16 offset:4
	;; [unrolled: 2-line block ×6, first 2 shown]
	s_waitcnt lgkmcnt(0)
	s_barrier
	buffer_gl0_inv
	ds_read_u16 v13, v0
	ds_read_u16 v16, v0 offset:252
	ds_read_u16 v17, v0 offset:504
	;; [unrolled: 1-line block ×11, first 2 shown]
                                        ; implicit-def: $vgpr26
	s_and_saveexec_b32 s1, s0
	s_cbranch_execz .LBB0_15
; %bb.14:
	ds_read_u16 v10, v0 offset:1008
	ds_read_u16 v12, v0 offset:2184
	;; [unrolled: 1-line block ×3, first 2 shown]
.LBB0_15:
	s_or_b32 exec_lo, exec_lo, s1
	v_mul_f16_sdwa v23, v23, v32 dst_sel:DWORD dst_unused:UNUSED_PAD src0_sel:DWORD src1_sel:WORD_1
	v_mul_f16_sdwa v31, v31, v32 dst_sel:DWORD dst_unused:UNUSED_PAD src0_sel:DWORD src1_sel:WORD_1
	;; [unrolled: 1-line block ×6, first 2 shown]
	v_fmac_f16_e32 v23, v51, v32
	v_mul_f16_sdwa v11, v11, v32 dst_sel:DWORD dst_unused:UNUSED_PAD src0_sel:DWORD src1_sel:WORD_1
	v_fmac_f16_e32 v31, v52, v32
	v_fmac_f16_e32 v22, v53, v32
	;; [unrolled: 1-line block ×5, first 2 shown]
	v_sub_f16_e32 v23, v48, v23
	v_fmac_f16_e32 v11, v47, v32
	v_sub_f16_e32 v50, v49, v31
	v_sub_f16_e32 v22, v40, v22
	v_sub_f16_e32 v15, v42, v15
	v_sub_f16_e32 v14, v43, v14
	v_fma_f16 v32, v48, 2.0, -v23
	v_sub_f16_e32 v21, v41, v21
	v_sub_f16_e32 v31, v44, v11
	v_fma_f16 v45, v49, 2.0, -v50
	v_fma_f16 v40, v40, 2.0, -v22
	;; [unrolled: 1-line block ×6, first 2 shown]
	s_waitcnt lgkmcnt(0)
	s_barrier
	buffer_gl0_inv
	ds_write_b16 v33, v32
	ds_write_b16 v33, v23 offset:4
	ds_write_b16 v36, v45
	ds_write_b16 v36, v50 offset:4
	;; [unrolled: 2-line block ×7, first 2 shown]
	s_waitcnt lgkmcnt(0)
	s_barrier
	buffer_gl0_inv
	ds_read_u16 v14, v0
	ds_read_u16 v15, v0 offset:252
	ds_read_u16 v21, v0 offset:504
	;; [unrolled: 1-line block ×11, first 2 shown]
                                        ; implicit-def: $vgpr38
	s_and_saveexec_b32 s1, s0
	s_cbranch_execz .LBB0_17
; %bb.16:
	ds_read_u16 v11, v0 offset:1008
	ds_read_u16 v31, v0 offset:2184
	;; [unrolled: 1-line block ×3, first 2 shown]
.LBB0_17:
	s_or_b32 exec_lo, exec_lo, s1
	v_and_b32_e32 v23, 3, v7
	v_and_b32_e32 v36, 3, v8
	;; [unrolled: 1-line block ×3, first 2 shown]
	v_lshrrev_b32_e32 v47, 2, v6
	v_lshrrev_b32_e32 v44, 2, v5
	v_lshlrev_b32_e32 v34, 3, v23
	v_lshlrev_b32_e32 v37, 3, v36
	v_lshrrev_b32_e32 v49, 2, v8
	v_mul_u32_u24_e32 v47, 12, v47
	v_mul_u32_u24_e32 v44, 12, v44
	s_clause 0x4
	global_load_dwordx2 v[58:59], v34, s[12:13] offset:8
	global_load_dword v60, v37, s[12:13] offset:8
	global_load_dword v46, v37, s[12:13] offset:10
	;; [unrolled: 1-line block ×3, first 2 shown]
	global_load_ushort v48, v37, s[12:13] offset:14
	v_lshlrev_b32_e32 v34, 3, v41
	v_or_b32_e32 v47, v47, v23
	v_mul_u32_u24_e32 v49, 12, v49
	v_or_b32_e32 v41, v44, v41
	global_load_ushort v57, v34, s[12:13] offset:8
	v_lshrrev_b32_e32 v37, 2, v7
	v_or_b32_e32 v36, v49, v36
	v_lshrrev_b32_e32 v34, 2, v9
	v_lshl_add_u32 v41, v41, 1, 0
	s_waitcnt vmcnt(0) lgkmcnt(0)
	v_mul_u32_u24_e32 v37, 12, v37
	v_lshl_add_u32 v36, v36, 1, 0
	s_barrier
	buffer_gl0_inv
	v_or_b32_e32 v37, v37, v23
	v_lshl_add_u32 v44, v37, 1, 0
	v_lshl_add_u32 v37, v47, 1, 0
	v_mul_f16_sdwa v62, v42, v58 dst_sel:DWORD dst_unused:UNUSED_PAD src0_sel:DWORD src1_sel:WORD_1
	v_mul_f16_sdwa v63, v43, v59 dst_sel:DWORD dst_unused:UNUSED_PAD src0_sel:DWORD src1_sel:WORD_1
	;; [unrolled: 1-line block ×4, first 2 shown]
	v_lshrrev_b32_e32 v64, 16, v46
	v_mul_f16_sdwa v50, v30, v61 dst_sel:DWORD dst_unused:UNUSED_PAD src0_sel:DWORD src1_sel:WORD_1
	v_mul_f16_sdwa v53, v25, v59 dst_sel:DWORD dst_unused:UNUSED_PAD src0_sel:DWORD src1_sel:WORD_1
	v_mul_f16_e32 v68, v32, v46
	v_mul_f16_e32 v47, v19, v46
	;; [unrolled: 1-line block ×4, first 2 shown]
	v_mul_f16_sdwa v70, v31, v58 dst_sel:DWORD dst_unused:UNUSED_PAD src0_sel:DWORD src1_sel:WORD_1
	v_mul_f16_sdwa v71, v38, v59 dst_sel:DWORD dst_unused:UNUSED_PAD src0_sel:DWORD src1_sel:WORD_1
	;; [unrolled: 1-line block ×10, first 2 shown]
	v_fma_f16 v56, v27, v57, -v56
	v_fmac_f16_e32 v52, v40, v57
	v_fmac_f16_e32 v50, v45, v64
	v_fma_f16 v45, v28, v58, -v62
	v_fma_f16 v57, v29, v59, -v63
	v_fmac_f16_e32 v53, v39, v59
	v_fma_f16 v39, v24, v61, -v69
	v_fmac_f16_e32 v46, v35, v61
	v_fma_f16 v24, v12, v58, -v70
	v_fma_f16 v35, v26, v59, -v71
	;; [unrolled: 1-line block ×3, first 2 shown]
	v_fmac_f16_e32 v55, v42, v58
	v_fmac_f16_e32 v49, v43, v59
	v_fma_f16 v42, v20, v58, -v66
	v_fmac_f16_e32 v54, v33, v58
	v_fma_f16 v43, v25, v59, -v67
	v_fma_f16 v33, v19, v60, -v68
	v_fmac_f16_e32 v51, v31, v58
	v_fmac_f16_e32 v48, v38, v59
	v_add_f16_e32 v19, v45, v57
	v_add_f16_e32 v59, v24, v35
	;; [unrolled: 1-line block ×3, first 2 shown]
	v_fmac_f16_e32 v47, v32, v60
	v_add_f16_e32 v12, v13, v45
	v_sub_f16_e32 v20, v55, v49
	v_add_f16_e32 v25, v16, v56
	v_add_f16_e32 v28, v17, v42
	;; [unrolled: 1-line block ×5, first 2 shown]
	v_sub_f16_e32 v60, v51, v48
	v_fmac_f16_e32 v13, -0.5, v19
	v_fmac_f16_e32 v10, -0.5, v59
	v_sub_f16_e32 v27, v52, v50
	v_fmac_f16_e32 v16, -0.5, v26
	v_sub_f16_e32 v30, v54, v53
	v_add_f16_e32 v31, v18, v33
	v_sub_f16_e32 v38, v47, v46
	v_add_f16_e32 v61, v12, v57
	v_add_f16_e32 v19, v25, v40
	;; [unrolled: 1-line block ×3, first 2 shown]
	v_fmac_f16_e32 v17, -0.5, v29
	v_fmac_f16_e32 v18, -0.5, v32
	v_add_f16_e32 v12, v58, v35
	v_fmamk_f16 v28, v20, 0x3aee, v13
	v_fmac_f16_e32 v13, 0xbaee, v20
	v_fmamk_f16 v20, v60, 0x3aee, v10
	v_fmac_f16_e32 v10, 0xbaee, v60
	v_fmamk_f16 v29, v27, 0x3aee, v16
	v_add_f16_e32 v26, v31, v39
	v_fmac_f16_e32 v16, 0xbaee, v27
	v_fmamk_f16 v27, v30, 0x3aee, v17
	v_fmac_f16_e32 v17, 0xbaee, v30
	v_fmamk_f16 v30, v38, 0x3aee, v18
	v_fmac_f16_e32 v18, 0xbaee, v38
	ds_write_b16 v44, v61
	ds_write_b16 v44, v28 offset:8
	ds_write_b16 v44, v13 offset:16
	ds_write_b16 v41, v19
	ds_write_b16 v41, v29 offset:8
	ds_write_b16 v41, v16 offset:16
	;; [unrolled: 3-line block ×4, first 2 shown]
	s_and_saveexec_b32 s1, s0
	s_cbranch_execz .LBB0_19
; %bb.18:
	v_mul_u32_u24_e32 v13, 12, v34
	v_or_b32_e32 v13, v13, v23
	v_lshl_add_u32 v13, v13, 1, 0
	ds_write_b16 v13, v12
	ds_write_b16 v13, v20 offset:8
	ds_write_b16 v13, v10 offset:16
.LBB0_19:
	s_or_b32 exec_lo, exec_lo, s1
	s_waitcnt lgkmcnt(0)
	s_barrier
	buffer_gl0_inv
	ds_read_u16 v16, v0
	ds_read_u16 v17, v0 offset:252
	ds_read_u16 v18, v0 offset:504
	;; [unrolled: 1-line block ×11, first 2 shown]
	s_and_saveexec_b32 s1, s0
	s_cbranch_execz .LBB0_21
; %bb.20:
	ds_read_u16 v12, v0 offset:1008
	ds_read_u16 v20, v0 offset:2184
	;; [unrolled: 1-line block ×3, first 2 shown]
.LBB0_21:
	s_or_b32 exec_lo, exec_lo, s1
	v_add_f16_e32 v13, v55, v49
	v_add_f16_e32 v38, v14, v55
	v_sub_f16_e32 v45, v45, v57
	v_add_f16_e32 v55, v52, v50
	v_sub_f16_e32 v40, v56, v40
	v_fmac_f16_e32 v14, -0.5, v13
	v_add_f16_e32 v13, v15, v52
	v_add_f16_e32 v52, v54, v53
	;; [unrolled: 1-line block ×3, first 2 shown]
	v_fmac_f16_e32 v15, -0.5, v55
	v_fmamk_f16 v49, v45, 0xbaee, v14
	v_fmac_f16_e32 v14, 0x3aee, v45
	v_add_f16_e32 v45, v13, v50
	v_add_f16_e32 v13, v21, v54
	v_fmac_f16_e32 v21, -0.5, v52
	v_sub_f16_e32 v42, v42, v43
	v_fmamk_f16 v43, v40, 0xbaee, v15
	v_fmac_f16_e32 v15, 0x3aee, v40
	v_add_f16_e32 v40, v13, v53
	v_add_f16_e32 v13, v47, v46
	v_fmamk_f16 v50, v42, 0xbaee, v21
	v_fmac_f16_e32 v21, 0x3aee, v42
	v_add_f16_e32 v42, v51, v48
	v_add_f16_e32 v47, v22, v47
	v_fmac_f16_e32 v22, -0.5, v13
	v_sub_f16_e32 v13, v33, v39
	v_add_f16_e32 v33, v11, v51
	v_fmac_f16_e32 v11, -0.5, v42
	v_sub_f16_e32 v24, v24, v35
	v_add_f16_e32 v35, v47, v46
	v_fmamk_f16 v39, v13, 0xbaee, v22
	v_fmac_f16_e32 v22, 0x3aee, v13
	v_add_f16_e32 v13, v33, v48
	v_fmamk_f16 v33, v24, 0xbaee, v11
	v_fmac_f16_e32 v11, 0x3aee, v24
	s_waitcnt lgkmcnt(0)
	s_barrier
	buffer_gl0_inv
	ds_write_b16 v44, v38
	ds_write_b16 v44, v49 offset:8
	ds_write_b16 v44, v14 offset:16
	ds_write_b16 v41, v45
	ds_write_b16 v41, v43 offset:8
	ds_write_b16 v41, v15 offset:16
	;; [unrolled: 3-line block ×4, first 2 shown]
	s_and_saveexec_b32 s1, s0
	s_cbranch_execz .LBB0_23
; %bb.22:
	v_mul_u32_u24_e32 v14, 12, v34
	v_or_b32_e32 v14, v14, v23
	v_lshl_add_u32 v14, v14, 1, 0
	ds_write_b16 v14, v13
	ds_write_b16 v14, v33 offset:8
	ds_write_b16 v14, v11 offset:16
.LBB0_23:
	s_or_b32 exec_lo, exec_lo, s1
	s_waitcnt lgkmcnt(0)
	s_barrier
	buffer_gl0_inv
	ds_read_u16 v21, v0
	ds_read_u16 v22, v0 offset:252
	ds_read_u16 v23, v0 offset:504
	;; [unrolled: 1-line block ×11, first 2 shown]
	s_and_saveexec_b32 s1, s0
	s_cbranch_execz .LBB0_25
; %bb.24:
	ds_read_u16 v13, v0 offset:1008
	ds_read_u16 v33, v0 offset:2184
	;; [unrolled: 1-line block ×3, first 2 shown]
.LBB0_25:
	s_or_b32 exec_lo, exec_lo, s1
	v_and_b32_e32 v15, 0xff, v7
	v_and_b32_e32 v14, 0xff, v5
	v_mov_b32_e32 v43, 0xaaab
	v_mov_b32_e32 v47, 3
	v_mul_lo_u16 v34, 0xab, v15
	v_mul_lo_u16 v44, 0xab, v14
	v_mul_u32_u24_sdwa v48, v8, v43 dst_sel:DWORD dst_unused:UNUSED_PAD src0_sel:WORD_0 src1_sel:DWORD
	v_lshrrev_b16 v45, 11, v34
	v_mul_u32_u24_sdwa v34, v6, v43 dst_sel:DWORD dst_unused:UNUSED_PAD src0_sel:WORD_0 src1_sel:DWORD
	v_lshrrev_b16 v44, 11, v44
	v_lshrrev_b32_e32 v48, 19, v48
	v_mul_u32_u24_sdwa v43, v9, v43 dst_sel:DWORD dst_unused:UNUSED_PAD src0_sel:WORD_0 src1_sel:DWORD
	v_mul_lo_u16 v46, v45, 12
	v_lshrrev_b32_e32 v49, 19, v34
	v_mul_lo_u16 v34, v44, 12
	v_mul_lo_u16 v52, v48, 12
	v_lshrrev_b32_e32 v43, 19, v43
	v_sub_nc_u16 v46, v7, v46
	v_mul_lo_u16 v50, v49, 12
	v_sub_nc_u16 v51, v5, v34
	v_sub_nc_u16 v52, v8, v52
	v_mul_u32_u24_e32 v48, 0x48, v48
	v_lshlrev_b32_sdwa v34, v47, v46 dst_sel:DWORD dst_unused:UNUSED_PAD src0_sel:DWORD src1_sel:BYTE_0
	v_sub_nc_u16 v6, v6, v50
	v_lshlrev_b32_sdwa v50, v47, v51 dst_sel:DWORD dst_unused:UNUSED_PAD src0_sel:DWORD src1_sel:BYTE_0
	global_load_dwordx2 v[57:58], v34, s[12:13] offset:40
	v_lshlrev_b32_sdwa v8, v47, v6 dst_sel:DWORD dst_unused:UNUSED_PAD src0_sel:DWORD src1_sel:WORD_0
	s_clause 0x1
	global_load_dwordx2 v[59:60], v50, s[12:13] offset:40
	global_load_dwordx2 v[61:62], v8, s[12:13] offset:40
	v_mul_lo_u16 v34, v43, 12
	v_mul_lo_u16 v43, v43, 36
	v_sub_nc_u16 v34, v9, v34
	v_lshlrev_b32_sdwa v9, v47, v52 dst_sel:DWORD dst_unused:UNUSED_PAD src0_sel:DWORD src1_sel:WORD_0
	v_lshlrev_b32_sdwa v8, v47, v34 dst_sel:DWORD dst_unused:UNUSED_PAD src0_sel:DWORD src1_sel:WORD_0
	s_clause 0x1
	global_load_dwordx2 v[63:64], v9, s[12:13] offset:40
	global_load_dwordx2 v[65:66], v8, s[12:13] offset:40
	v_mov_b32_e32 v9, 0x48
	v_mov_b32_e32 v8, 1
	s_waitcnt vmcnt(0) lgkmcnt(0)
	s_barrier
	buffer_gl0_inv
	v_mul_u32_u24_sdwa v45, v45, v9 dst_sel:DWORD dst_unused:UNUSED_PAD src0_sel:WORD_0 src1_sel:DWORD
	v_mul_u32_u24_sdwa v9, v44, v9 dst_sel:DWORD dst_unused:UNUSED_PAD src0_sel:WORD_0 src1_sel:DWORD
	v_mul_u32_u24_e32 v44, 0x48, v49
	v_lshlrev_b32_sdwa v46, v8, v46 dst_sel:DWORD dst_unused:UNUSED_PAD src0_sel:DWORD src1_sel:BYTE_0
	v_lshlrev_b32_sdwa v49, v8, v51 dst_sel:DWORD dst_unused:UNUSED_PAD src0_sel:DWORD src1_sel:BYTE_0
	v_lshlrev_b32_sdwa v6, v8, v6 dst_sel:DWORD dst_unused:UNUSED_PAD src0_sel:DWORD src1_sel:WORD_0
	v_lshlrev_b32_sdwa v50, v8, v52 dst_sel:DWORD dst_unused:UNUSED_PAD src0_sel:DWORD src1_sel:WORD_0
	v_add3_u32 v47, 0, v45, v46
	v_add3_u32 v46, 0, v9, v49
	;; [unrolled: 1-line block ×4, first 2 shown]
	v_mul_f16_sdwa v56, v41, v57 dst_sel:DWORD dst_unused:UNUSED_PAD src0_sel:DWORD src1_sel:WORD_1
	v_mul_f16_sdwa v55, v31, v57 dst_sel:DWORD dst_unused:UNUSED_PAD src0_sel:DWORD src1_sel:WORD_1
	;; [unrolled: 1-line block ×8, first 2 shown]
	v_fma_f16 v56, v31, v57, -v56
	v_fmac_f16_e32 v55, v41, v57
	v_fma_f16 v41, v32, v58, -v67
	v_mul_f16_sdwa v53, v27, v59 dst_sel:DWORD dst_unused:UNUSED_PAD src0_sel:DWORD src1_sel:WORD_1
	v_mul_f16_sdwa v6, v30, v60 dst_sel:DWORD dst_unused:UNUSED_PAD src0_sel:DWORD src1_sel:WORD_1
	v_fma_f16 v31, v27, v59, -v68
	v_fma_f16 v32, v30, v60, -v69
	v_mul_f16_sdwa v54, v26, v61 dst_sel:DWORD dst_unused:UNUSED_PAD src0_sel:DWORD src1_sel:WORD_1
	v_mul_f16_sdwa v51, v29, v62 dst_sel:DWORD dst_unused:UNUSED_PAD src0_sel:DWORD src1_sel:WORD_1
	v_fma_f16 v27, v26, v61, -v70
	v_fma_f16 v30, v29, v62, -v71
	v_fmac_f16_e32 v9, v42, v58
	v_mul_f16_sdwa v72, v35, v63 dst_sel:DWORD dst_unused:UNUSED_PAD src0_sel:DWORD src1_sel:WORD_1
	v_mul_f16_sdwa v73, v38, v64 dst_sel:DWORD dst_unused:UNUSED_PAD src0_sel:DWORD src1_sel:WORD_1
	;; [unrolled: 1-line block ×6, first 2 shown]
	v_fma_f16 v25, v25, v63, -v72
	v_fma_f16 v26, v28, v64, -v73
	v_mul_f16_sdwa v74, v33, v65 dst_sel:DWORD dst_unused:UNUSED_PAD src0_sel:DWORD src1_sel:WORD_1
	v_mul_f16_sdwa v49, v20, v65 dst_sel:DWORD dst_unused:UNUSED_PAD src0_sel:DWORD src1_sel:WORD_1
	v_fmac_f16_e32 v48, v11, v66
	v_add_f16_e32 v11, v56, v41
	v_fmac_f16_e32 v53, v37, v59
	v_fmac_f16_e32 v6, v40, v60
	;; [unrolled: 1-line block ×3, first 2 shown]
	v_add_f16_e32 v35, v31, v32
	v_fmac_f16_e32 v54, v36, v61
	v_fmac_f16_e32 v51, v39, v62
	;; [unrolled: 1-line block ×3, first 2 shown]
	v_fma_f16 v29, v10, v66, -v75
	v_add_f16_e32 v10, v16, v56
	v_add_f16_e32 v38, v27, v30
	;; [unrolled: 1-line block ×3, first 2 shown]
	v_fma_f16 v28, v20, v65, -v74
	v_fmac_f16_e32 v49, v33, v65
	v_sub_f16_e32 v20, v55, v9
	v_add_f16_e32 v33, v17, v31
	v_add_f16_e32 v37, v18, v27
	v_fmac_f16_e32 v16, -0.5, v11
	v_sub_f16_e32 v36, v53, v6
	v_fmac_f16_e32 v17, -0.5, v35
	v_sub_f16_e32 v39, v54, v51
	v_add_f16_e32 v40, v19, v25
	v_sub_f16_e32 v57, v52, v50
	v_add_f16_e32 v10, v10, v41
	v_fmac_f16_e32 v18, -0.5, v38
	v_fmac_f16_e32 v19, -0.5, v42
	v_add_f16_e32 v11, v33, v32
	v_add_f16_e32 v33, v37, v30
	v_fmamk_f16 v37, v20, 0x3aee, v16
	v_fmac_f16_e32 v16, 0xbaee, v20
	v_fmamk_f16 v20, v36, 0x3aee, v17
	v_add_f16_e32 v35, v40, v26
	v_fmac_f16_e32 v17, 0xbaee, v36
	v_fmamk_f16 v36, v39, 0x3aee, v18
	v_fmac_f16_e32 v18, 0xbaee, v39
	v_fmamk_f16 v38, v57, 0x3aee, v19
	v_fmac_f16_e32 v19, 0xbaee, v57
	ds_write_b16 v47, v10
	ds_write_b16 v47, v37 offset:24
	ds_write_b16 v47, v16 offset:48
	ds_write_b16 v46, v11
	ds_write_b16 v46, v20 offset:24
	ds_write_b16 v46, v17 offset:48
	;; [unrolled: 3-line block ×4, first 2 shown]
	s_and_saveexec_b32 s1, s0
	s_cbranch_execz .LBB0_27
; %bb.26:
	v_add_f16_e32 v10, v28, v29
	v_add_f16_e32 v16, v12, v28
	v_lshlrev_b32_sdwa v17, v8, v34 dst_sel:DWORD dst_unused:UNUSED_PAD src0_sel:DWORD src1_sel:WORD_0
	v_lshlrev_b32_sdwa v8, v8, v43 dst_sel:DWORD dst_unused:UNUSED_PAD src0_sel:DWORD src1_sel:WORD_0
	v_sub_f16_e32 v11, v49, v48
	v_fma_f16 v10, -0.5, v10, v12
	v_add_f16_e32 v12, v16, v29
	v_add3_u32 v8, 0, v17, v8
	v_fmamk_f16 v16, v11, 0xbaee, v10
	v_fmac_f16_e32 v10, 0x3aee, v11
	ds_write_b16 v8, v12
	ds_write_b16 v8, v10 offset:24
	ds_write_b16 v8, v16 offset:48
.LBB0_27:
	s_or_b32 exec_lo, exec_lo, s1
	v_add_f16_e32 v8, v55, v9
	v_add_f16_e32 v10, v21, v55
	;; [unrolled: 1-line block ×3, first 2 shown]
	v_sub_f16_e32 v11, v56, v41
	v_add_f16_e32 v16, v54, v51
	v_fmac_f16_e32 v21, -0.5, v8
	v_add_f16_e32 v8, v22, v53
	v_add_f16_e32 v33, v10, v9
	v_fmac_f16_e32 v22, -0.5, v12
	v_sub_f16_e32 v9, v31, v32
	v_fmamk_f16 v35, v11, 0xbaee, v21
	v_add_f16_e32 v31, v8, v6
	v_add_f16_e32 v6, v23, v54
	;; [unrolled: 1-line block ×3, first 2 shown]
	v_fmac_f16_e32 v21, 0x3aee, v11
	v_fmac_f16_e32 v23, -0.5, v16
	v_sub_f16_e32 v30, v27, v30
	v_fmamk_f16 v32, v9, 0xbaee, v22
	v_fmac_f16_e32 v22, 0x3aee, v9
	v_add_f16_e32 v36, v6, v51
	v_add_f16_e32 v38, v24, v52
	v_fmac_f16_e32 v24, -0.5, v8
	v_sub_f16_e32 v39, v25, v26
	s_waitcnt lgkmcnt(0)
	s_barrier
	buffer_gl0_inv
	ds_read_u16 v6, v0
	ds_read_u16 v11, v0 offset:2016
	ds_read_u16 v9, v0 offset:1764
	;; [unrolled: 1-line block ×13, first 2 shown]
	v_fmamk_f16 v37, v30, 0xbaee, v23
	v_fmac_f16_e32 v23, 0x3aee, v30
	v_add_f16_e32 v30, v38, v50
	v_fmamk_f16 v38, v39, 0xbaee, v24
	v_fmac_f16_e32 v24, 0x3aee, v39
	s_waitcnt lgkmcnt(0)
	s_barrier
	buffer_gl0_inv
	ds_write_b16 v47, v33
	ds_write_b16 v47, v35 offset:24
	ds_write_b16 v47, v21 offset:48
	ds_write_b16 v46, v31
	ds_write_b16 v46, v32 offset:24
	ds_write_b16 v46, v22 offset:48
	;; [unrolled: 3-line block ×4, first 2 shown]
	s_and_saveexec_b32 s1, s0
	s_cbranch_execz .LBB0_29
; %bb.28:
	v_mov_b32_e32 v21, 1
	v_add_f16_e32 v22, v49, v48
	v_add_f16_e32 v23, v13, v49
	v_sub_f16_e32 v24, v28, v29
	v_lshlrev_b32_sdwa v28, v21, v34 dst_sel:DWORD dst_unused:UNUSED_PAD src0_sel:DWORD src1_sel:WORD_0
	v_lshlrev_b32_sdwa v21, v21, v43 dst_sel:DWORD dst_unused:UNUSED_PAD src0_sel:DWORD src1_sel:WORD_0
	v_fmac_f16_e32 v13, -0.5, v22
	v_add_f16_e32 v22, v23, v48
	v_add3_u32 v21, 0, v28, v21
	v_fmamk_f16 v23, v24, 0xbaee, v13
	v_fmamk_f16 v13, v24, 0x3aee, v13
	ds_write_b16 v21, v22
	ds_write_b16 v21, v23 offset:24
	ds_write_b16 v21, v13 offset:48
.LBB0_29:
	s_or_b32 exec_lo, exec_lo, s1
	v_mul_lo_u16 v13, v15, 57
	v_mul_lo_u16 v14, v14, 57
	v_mov_b32_e32 v28, 6
	s_waitcnt lgkmcnt(0)
	s_barrier
	v_lshrrev_b16 v15, 11, v13
	v_lshrrev_b16 v35, 11, v14
	buffer_gl0_inv
	v_mov_b32_e32 v43, 0x1f8
	v_mov_b32_e32 v46, 1
	v_mul_lo_u16 v13, v15, 36
	v_mul_lo_u16 v14, v35, 36
	v_mul_u32_u24_sdwa v15, v15, v43 dst_sel:DWORD dst_unused:UNUSED_PAD src0_sel:WORD_0 src1_sel:DWORD
	v_mul_u32_u24_sdwa v35, v35, v43 dst_sel:DWORD dst_unused:UNUSED_PAD src0_sel:WORD_0 src1_sel:DWORD
	v_sub_nc_u16 v34, v7, v13
	v_sub_nc_u16 v36, v5, v14
	v_mul_u32_u24_sdwa v13, v34, v28 dst_sel:DWORD dst_unused:UNUSED_PAD src0_sel:BYTE_0 src1_sel:DWORD
	v_mul_u32_u24_sdwa v14, v36, v28 dst_sel:DWORD dst_unused:UNUSED_PAD src0_sel:BYTE_0 src1_sel:DWORD
	v_lshlrev_b32_sdwa v34, v46, v34 dst_sel:DWORD dst_unused:UNUSED_PAD src0_sel:DWORD src1_sel:BYTE_0
	v_lshlrev_b32_sdwa v36, v46, v36 dst_sel:DWORD dst_unused:UNUSED_PAD src0_sel:DWORD src1_sel:BYTE_0
	v_lshlrev_b32_e32 v13, 2, v13
	v_lshlrev_b32_e32 v32, 2, v14
	v_add3_u32 v34, 0, v15, v34
	v_add3_u32 v35, 0, v35, v36
	s_clause 0x3
	global_load_dwordx4 v[21:24], v13, s[12:13] offset:136
	global_load_dwordx2 v[13:14], v13, s[12:13] offset:152
	global_load_dwordx4 v[28:31], v32, s[12:13] offset:136
	global_load_dwordx2 v[32:33], v32, s[12:13] offset:152
	ds_read_u16 v37, v0
	ds_read_u16 v38, v0 offset:504
	ds_read_u16 v39, v0 offset:1008
	;; [unrolled: 1-line block ×13, first 2 shown]
	s_waitcnt vmcnt(0) lgkmcnt(0)
	s_barrier
	buffer_gl0_inv
	v_mul_f16_sdwa v57, v41, v13 dst_sel:DWORD dst_unused:UNUSED_PAD src0_sel:DWORD src1_sel:WORD_1
	v_mul_f16_sdwa v15, v38, v21 dst_sel:DWORD dst_unused:UNUSED_PAD src0_sel:DWORD src1_sel:WORD_1
	;; [unrolled: 1-line block ×21, first 2 shown]
	v_fma_f16 v15, v27, v21, -v15
	v_fmac_f16_e32 v36, v38, v21
	v_fma_f16 v21, v25, v22, -v51
	v_fmac_f16_e32 v52, v39, v22
	;; [unrolled: 2-line block ×3, first 2 shown]
	v_fma_f16 v13, v20, v14, -v59
	v_mul_f16_sdwa v65, v42, v30 dst_sel:DWORD dst_unused:UNUSED_PAD src0_sel:DWORD src1_sel:WORD_1
	v_mul_f16_sdwa v66, v9, v30 dst_sel:DWORD dst_unused:UNUSED_PAD src0_sel:DWORD src1_sel:WORD_1
	;; [unrolled: 1-line block ×3, first 2 shown]
	v_fma_f16 v19, v19, v23, -v53
	v_fmac_f16_e32 v54, v44, v23
	v_fma_f16 v11, v11, v24, -v55
	v_fmac_f16_e32 v56, v40, v24
	v_fmac_f16_e32 v60, v43, v14
	v_fma_f16 v14, v17, v28, -v61
	v_fmac_f16_e32 v62, v47, v28
	v_fma_f16 v12, v12, v29, -v63
	v_fmac_f16_e32 v64, v45, v29
	v_fma_f16 v16, v16, v32, -v69
	v_fmac_f16_e32 v70, v49, v32
	v_fma_f16 v10, v10, v33, -v71
	v_fmac_f16_e32 v72, v46, v33
	v_fma_f16 v17, v18, v31, -v67
	v_add_f16_e32 v18, v15, v13
	v_add_f16_e32 v23, v21, v22
	v_fma_f16 v9, v9, v30, -v65
	v_fmac_f16_e32 v66, v42, v30
	v_fmac_f16_e32 v68, v50, v31
	v_add_f16_e32 v20, v36, v60
	v_sub_f16_e32 v13, v15, v13
	v_sub_f16_e32 v15, v36, v60
	v_add_f16_e32 v24, v52, v58
	v_sub_f16_e32 v21, v21, v22
	v_sub_f16_e32 v22, v52, v58
	v_add_f16_e32 v25, v19, v11
	v_add_f16_e32 v26, v54, v56
	v_sub_f16_e32 v11, v11, v19
	v_sub_f16_e32 v19, v56, v54
	v_add_f16_e32 v27, v14, v10
	v_add_f16_e32 v28, v62, v72
	;; [unrolled: 1-line block ×5, first 2 shown]
	v_sub_f16_e32 v10, v14, v10
	v_sub_f16_e32 v14, v62, v72
	;; [unrolled: 1-line block ×4, first 2 shown]
	v_add_f16_e32 v31, v9, v17
	v_sub_f16_e32 v9, v17, v9
	v_sub_f16_e32 v17, v68, v66
	v_add_f16_e32 v32, v66, v68
	v_add_f16_e32 v36, v24, v20
	v_sub_f16_e32 v38, v23, v18
	v_sub_f16_e32 v39, v24, v20
	;; [unrolled: 1-line block ×6, first 2 shown]
	v_add_f16_e32 v40, v11, v21
	v_add_f16_e32 v41, v19, v22
	v_sub_f16_e32 v42, v11, v21
	v_sub_f16_e32 v43, v19, v22
	;; [unrolled: 1-line block ×4, first 2 shown]
	v_add_f16_e32 v44, v29, v27
	v_add_f16_e32 v45, v30, v28
	;; [unrolled: 1-line block ×3, first 2 shown]
	v_sub_f16_e32 v46, v29, v27
	v_sub_f16_e32 v29, v31, v29
	v_add_f16_e32 v50, v17, v16
	v_sub_f16_e32 v52, v17, v16
	v_sub_f16_e32 v16, v16, v14
	;; [unrolled: 1-line block ×8, first 2 shown]
	v_add_f16_e32 v49, v9, v12
	v_sub_f16_e32 v51, v9, v12
	v_sub_f16_e32 v12, v12, v10
	v_add_f16_e32 v26, v26, v36
	v_add_f16_e32 v13, v40, v13
	v_add_f16_e32 v15, v41, v15
	v_mul_f16_e32 v18, 0x3a52, v18
	v_mul_f16_e32 v20, 0x3a52, v20
	;; [unrolled: 1-line block ×8, first 2 shown]
	v_add_f16_e32 v31, v31, v44
	v_add_f16_e32 v32, v32, v45
	;; [unrolled: 1-line block ×3, first 2 shown]
	v_sub_f16_e32 v17, v14, v17
	v_add_f16_e32 v14, v50, v14
	v_mul_f16_e32 v44, 0x2b26, v29
	v_mul_f16_e32 v50, 0xb846, v52
	v_mul_f16_e32 v52, 0x3b00, v16
	v_sub_f16_e32 v9, v10, v9
	v_add_f16_e32 v10, v49, v10
	v_mul_f16_e32 v27, 0x3a52, v27
	v_mul_f16_e32 v28, 0x3a52, v28
	;; [unrolled: 1-line block ×5, first 2 shown]
	v_add_f16_e32 v37, v37, v26
	v_fmamk_f16 v23, v23, 0x2b26, v18
	v_fmamk_f16 v24, v24, 0x2b26, v20
	v_fma_f16 v33, v38, 0x39e0, -v33
	v_fma_f16 v36, v39, 0x39e0, -v36
	;; [unrolled: 1-line block ×4, first 2 shown]
	v_fmamk_f16 v38, v11, 0x3574, v40
	v_fmamk_f16 v39, v19, 0x3574, v41
	v_fma_f16 v21, v21, 0x3b00, -v40
	v_fma_f16 v22, v22, 0x3b00, -v41
	v_fma_f16 v11, v11, 0xb574, -v42
	v_fma_f16 v19, v19, 0xb574, -v43
	v_add_f16_e32 v8, v8, v31
	v_add_f16_e32 v40, v48, v32
	v_fmamk_f16 v25, v25, 0xbcab, v6
	v_fma_f16 v41, v46, 0x39e0, -v44
	v_fmamk_f16 v44, v17, 0x3574, v50
	v_fma_f16 v16, v16, 0x3b00, -v50
	v_fma_f16 v17, v17, 0xb574, -v52
	v_fmamk_f16 v29, v29, 0x2b26, v27
	v_fmamk_f16 v30, v30, 0x2b26, v28
	v_fma_f16 v42, v47, 0x39e0, -v45
	v_fma_f16 v27, v46, 0xb9e0, -v27
	;; [unrolled: 1-line block ×3, first 2 shown]
	v_fmamk_f16 v43, v9, 0x3574, v49
	v_fma_f16 v12, v12, 0x3b00, -v49
	v_fma_f16 v9, v9, 0xb574, -v51
	v_fmamk_f16 v26, v26, 0xbcab, v37
	v_fmac_f16_e32 v38, 0x370e, v13
	v_fmac_f16_e32 v39, 0x370e, v15
	;; [unrolled: 1-line block ×6, first 2 shown]
	v_fmamk_f16 v13, v31, 0xbcab, v8
	v_fmamk_f16 v15, v32, 0xbcab, v40
	ds_write_b16 v34, v6
	v_add_f16_e32 v6, v23, v25
	v_add_f16_e32 v18, v18, v25
	v_fmac_f16_e32 v44, 0x370e, v14
	v_fmac_f16_e32 v16, 0x370e, v14
	;; [unrolled: 1-line block ×3, first 2 shown]
	v_add_f16_e32 v14, v33, v25
	v_fmac_f16_e32 v43, 0x370e, v10
	v_fmac_f16_e32 v12, 0x370e, v10
	;; [unrolled: 1-line block ×3, first 2 shown]
	v_add_f16_e32 v10, v24, v26
	v_add_f16_e32 v23, v36, v26
	;; [unrolled: 1-line block ×11, first 2 shown]
	v_sub_f16_e32 v32, v14, v22
	v_add_f16_e32 v14, v22, v14
	v_sub_f16_e32 v28, v10, v38
	v_sub_f16_e32 v31, v20, v11
	v_add_f16_e32 v33, v21, v23
	v_sub_f16_e32 v21, v23, v21
	;; [unrolled: 3-line block ×3, first 2 shown]
	v_add_f16_e32 v23, v38, v10
	v_add_f16_e32 v10, v44, v24
	;; [unrolled: 1-line block ×3, first 2 shown]
	v_sub_f16_e32 v38, v15, v9
	v_sub_f16_e32 v19, v26, v16
	v_add_f16_e32 v39, v12, v29
	v_add_f16_e32 v16, v16, v26
	v_sub_f16_e32 v26, v29, v12
	v_sub_f16_e32 v12, v13, v17
	v_add_f16_e32 v29, v9, v15
	v_sub_f16_e32 v9, v24, v44
	ds_write_b16 v34, v27 offset:72
	ds_write_b16 v34, v30 offset:144
	;; [unrolled: 1-line block ×6, first 2 shown]
	ds_write_b16 v35, v8
	ds_write_b16 v35, v10 offset:72
	ds_write_b16 v35, v11 offset:144
	ds_write_b16 v35, v19 offset:216
	ds_write_b16 v35, v16 offset:288
	ds_write_b16 v35, v12 offset:360
	ds_write_b16 v35, v9 offset:432
	s_waitcnt lgkmcnt(0)
	s_barrier
	buffer_gl0_inv
	ds_read_u16 v6, v0
	ds_read_u16 v9, v0 offset:2016
	ds_read_u16 v16, v0 offset:1764
	;; [unrolled: 1-line block ×13, first 2 shown]
	v_sub_f16_e32 v36, v25, v43
	v_add_f16_e32 v24, v43, v25
	s_waitcnt lgkmcnt(0)
	s_barrier
	buffer_gl0_inv
	ds_write_b16 v34, v37
	ds_write_b16 v34, v28 offset:72
	ds_write_b16 v34, v31 offset:144
	;; [unrolled: 1-line block ×6, first 2 shown]
	ds_write_b16 v35, v40
	ds_write_b16 v35, v36 offset:72
	ds_write_b16 v35, v38 offset:144
	;; [unrolled: 1-line block ×6, first 2 shown]
	s_waitcnt lgkmcnt(0)
	s_barrier
	buffer_gl0_inv
	s_and_saveexec_b32 s0, vcc_lo
	s_cbranch_execz .LBB0_31
; %bb.30:
	v_mul_u32_u24_e32 v5, 6, v5
	v_add_nc_u32_e32 v33, 0x7e, v7
	v_mul_lo_u32 v35, s3, v3
	v_mul_lo_u32 v36, s2, v4
	v_mad_u64_u32 v[3:4], null, s2, v3, 0
	v_lshlrev_b32_e32 v5, 2, v5
	v_lshrrev_b32_e32 v34, 2, v33
	s_clause 0x1
	global_load_dwordx4 v[21:24], v5, s[12:13] offset:1000
	global_load_dwordx2 v[29:30], v5, s[12:13] offset:1016
	v_mul_u32_u24_e32 v5, 6, v7
	v_mul_hi_u32 v34, 0x20820821, v34
	v_add3_u32 v4, v4, v36, v35
	v_lshlrev_b32_e32 v5, 2, v5
	s_clause 0x1
	global_load_dwordx4 v[25:28], v5, s[12:13] offset:1000
	global_load_dwordx2 v[31:32], v5, s[12:13] offset:1016
	v_lshrrev_b32_e32 v5, 2, v7
	v_lshrrev_b32_e32 v34, 3, v34
	v_lshlrev_b64 v[3:4], 2, v[3:4]
	ds_read_u16 v49, v0 offset:3276
	ds_read_u16 v50, v0 offset:3024
	;; [unrolled: 1-line block ×13, first 2 shown]
	ds_read_u16 v62, v0
	v_mul_hi_u32 v5, 0x20820821, v5
	v_mul_lo_u32 v35, 0xfc, v34
	v_lshlrev_b64 v[0:1], 2, v[1:2]
	v_mov_b32_e32 v2, 0
	v_lshrrev_b32_e32 v5, 3, v5
	v_mul_lo_u32 v5, 0xfc, v5
	v_sub_nc_u32_e32 v5, v7, v5
	v_add_co_u32 v7, vcc_lo, s10, v3
	v_add_co_ci_u32_e32 v4, vcc_lo, s11, v4, vcc_lo
	v_sub_nc_u32_e32 v3, v33, v35
	v_add_co_u32 v7, vcc_lo, v7, v0
	v_add_co_ci_u32_e32 v63, vcc_lo, v4, v1, vcc_lo
	v_mad_u64_u32 v[0:1], null, 0x6e4, v34, v[3:4]
	v_mov_b32_e32 v1, v2
	v_lshlrev_b32_e32 v5, 2, v5
	v_lshlrev_b64 v[35:36], 2, v[0:1]
	v_add_nc_u32_e32 v1, 0xfc, v0
	v_add_co_u32 v3, vcc_lo, v7, v5
	v_add_co_ci_u32_e32 v4, vcc_lo, 0, v63, vcc_lo
	v_lshlrev_b64 v[39:40], 2, v[1:2]
	v_add_nc_u32_e32 v1, 0x1f8, v0
	v_add_co_u32 v33, vcc_lo, 0x800, v3
	v_add_co_ci_u32_e32 v34, vcc_lo, 0, v4, vcc_lo
	;; [unrolled: 4-line block ×5, first 2 shown]
	v_add_co_u32 v41, vcc_lo, v7, v41
	v_lshlrev_b64 v[47:48], 2, v[1:2]
	v_add_nc_u32_e32 v1, 0x5e8, v0
	v_add_co_ci_u32_e32 v42, vcc_lo, v63, v42, vcc_lo
	v_add_co_u32 v43, vcc_lo, v7, v43
	v_add_co_ci_u32_e32 v44, vcc_lo, v63, v44, vcc_lo
	v_add_co_u32 v45, vcc_lo, v7, v45
	v_lshlrev_b64 v[0:1], 2, v[1:2]
	v_add_co_ci_u32_e32 v46, vcc_lo, v63, v46, vcc_lo
	v_add_co_u32 v47, vcc_lo, v7, v47
	v_add_co_ci_u32_e32 v48, vcc_lo, v63, v48, vcc_lo
	v_add_co_u32 v0, vcc_lo, v7, v0
	v_add_co_ci_u32_e32 v1, vcc_lo, v63, v1, vcc_lo
	s_waitcnt vmcnt(3) lgkmcnt(3)
	v_mul_f16_sdwa v2, v59, v21 dst_sel:DWORD dst_unused:UNUSED_PAD src0_sel:DWORD src1_sel:WORD_1
	s_waitcnt vmcnt(2)
	v_mul_f16_sdwa v5, v49, v30 dst_sel:DWORD dst_unused:UNUSED_PAD src0_sel:DWORD src1_sel:WORD_1
	v_mul_f16_sdwa v7, v53, v24 dst_sel:DWORD dst_unused:UNUSED_PAD src0_sel:DWORD src1_sel:WORD_1
	;; [unrolled: 1-line block ×11, first 2 shown]
	s_waitcnt vmcnt(1) lgkmcnt(2)
	v_mul_f16_sdwa v72, v60, v25 dst_sel:DWORD dst_unused:UNUSED_PAD src0_sel:DWORD src1_sel:WORD_1
	s_waitcnt vmcnt(0)
	v_mul_f16_sdwa v73, v50, v32 dst_sel:DWORD dst_unused:UNUSED_PAD src0_sel:DWORD src1_sel:WORD_1
	v_mul_f16_sdwa v74, v54, v28 dst_sel:DWORD dst_unused:UNUSED_PAD src0_sel:DWORD src1_sel:WORD_1
	;; [unrolled: 1-line block ×3, first 2 shown]
	v_fma_f16 v2, v18, v21, -v2
	v_mul_f16_sdwa v18, v58, v26 dst_sel:DWORD dst_unused:UNUSED_PAD src0_sel:DWORD src1_sel:WORD_1
	v_fma_f16 v5, v19, v30, -v5
	v_mul_f16_sdwa v19, v52, v31 dst_sel:DWORD dst_unused:UNUSED_PAD src0_sel:DWORD src1_sel:WORD_1
	;; [unrolled: 2-line block ×4, first 2 shown]
	v_fmac_f16_e32 v66, v30, v49
	v_mul_f16_sdwa v30, v13, v31 dst_sel:DWORD dst_unused:UNUSED_PAD src0_sel:DWORD src1_sel:WORD_1
	v_fmac_f16_e32 v67, v21, v59
	v_mul_f16_sdwa v21, v11, v26 dst_sel:DWORD dst_unused:UNUSED_PAD src0_sel:DWORD src1_sel:WORD_1
	v_fma_f16 v15, v15, v22, -v64
	v_mul_f16_sdwa v64, v10, v27 dst_sel:DWORD dst_unused:UNUSED_PAD src0_sel:DWORD src1_sel:WORD_1
	v_fma_f16 v17, v17, v29, -v65
	v_mul_f16_sdwa v65, v9, v28 dst_sel:DWORD dst_unused:UNUSED_PAD src0_sel:DWORD src1_sel:WORD_1
	v_fmac_f16_e32 v68, v23, v55
	v_fmac_f16_e32 v69, v24, v53
	;; [unrolled: 1-line block ×4, first 2 shown]
	v_fma_f16 v12, v12, v25, -v72
	v_fma_f16 v14, v14, v32, -v73
	;; [unrolled: 1-line block ×6, first 2 shown]
	v_fmac_f16_e32 v20, v32, v50
	v_fmac_f16_e32 v63, v25, v60
	;; [unrolled: 1-line block ×6, first 2 shown]
	v_sub_f16_e32 v18, v2, v5
	v_sub_f16_e32 v19, v7, v16
	;; [unrolled: 1-line block ×3, first 2 shown]
	v_add_f16_e32 v23, v67, v66
	v_add_f16_e32 v24, v69, v68
	;; [unrolled: 1-line block ×6, first 2 shown]
	v_sub_f16_e32 v15, v67, v66
	v_sub_f16_e32 v16, v69, v68
	;; [unrolled: 1-line block ×5, first 2 shown]
	v_add_f16_e32 v29, v63, v20
	v_add_f16_e32 v32, v21, v30
	v_add_f16_e32 v12, v12, v14
	v_add_f16_e32 v9, v9, v10
	v_add_f16_e32 v10, v11, v13
	v_sub_f16_e32 v28, v11, v13
	v_add_f16_e32 v31, v65, v64
	v_sub_f16_e32 v11, v63, v20
	v_sub_f16_e32 v13, v65, v64
	;; [unrolled: 1-line block ×5, first 2 shown]
	v_add_f16_e32 v19, v19, v22
	v_sub_f16_e32 v49, v24, v25
	v_add_f16_e32 v50, v23, v25
	v_sub_f16_e32 v51, v2, v5
	v_sub_f16_e32 v52, v5, v7
	v_add_f16_e32 v53, v2, v7
	v_sub_f16_e32 v54, v15, v16
	;; [unrolled: 3-line block ×3, first 2 shown]
	v_sub_f16_e32 v2, v7, v2
	v_sub_f16_e32 v7, v17, v15
	v_add_f16_e32 v58, v29, v32
	v_add_f16_e32 v63, v12, v10
	v_sub_f16_e32 v30, v23, v24
	v_sub_f16_e32 v23, v25, v23
	;; [unrolled: 1-line block ×4, first 2 shown]
	v_add_f16_e32 v27, v27, v28
	v_sub_f16_e32 v56, v29, v31
	v_sub_f16_e32 v57, v31, v32
	;; [unrolled: 1-line block ×6, first 2 shown]
	v_add_f16_e32 v13, v13, v14
	v_sub_f16_e32 v28, v28, v26
	v_sub_f16_e32 v29, v32, v29
	;; [unrolled: 1-line block ×4, first 2 shown]
	v_mul_f16_e32 v14, 0xb846, v21
	v_mul_f16_e32 v21, 0x2b26, v49
	v_add_f16_e32 v24, v24, v50
	v_mul_f16_e32 v32, 0x3a52, v51
	v_mul_f16_e32 v49, 0x2b26, v52
	v_add_f16_e32 v5, v5, v53
	v_mul_f16_e32 v50, 0xb846, v55
	v_add_f16_e32 v15, v15, v16
	v_mul_f16_e32 v16, 0x3b00, v22
	v_mul_f16_e32 v52, 0x3b00, v7
	v_add_f16_e32 v31, v31, v58
	v_add_f16_e32 v9, v9, v63
	;; [unrolled: 1-line block ×3, first 2 shown]
	v_mul_f16_e32 v19, 0x3a52, v30
	v_mul_f16_e32 v25, 0xb846, v25
	v_add_f16_e32 v26, v26, v27
	v_mul_f16_e32 v27, 0x3a52, v56
	v_mul_f16_e32 v53, 0x2b26, v57
	;; [unrolled: 1-line block ×4, first 2 shown]
	v_add_f16_e32 v11, v11, v13
	v_mul_f16_e32 v13, 0x3b00, v28
	v_fmamk_f16 v63, v20, 0x3574, v14
	s_waitcnt lgkmcnt(1)
	v_add_f16_e32 v61, v61, v24
	v_fmamk_f16 v51, v51, 0x3a52, v49
	v_add_f16_e32 v8, v8, v5
	v_fmamk_f16 v65, v54, 0x3574, v50
	v_fma_f16 v16, v20, 0xb574, -v16
	v_fma_f16 v20, v2, 0xb9e0, -v32
	;; [unrolled: 1-line block ×5, first 2 shown]
	s_waitcnt lgkmcnt(0)
	v_add_f16_e32 v49, v62, v31
	v_add_f16_e32 v6, v6, v9
	v_mul_f16_e32 v55, 0x3a52, v59
	v_mul_f16_e32 v60, 0x3b00, v12
	v_fmamk_f16 v30, v30, 0x3a52, v21
	v_fma_f16 v19, v23, 0xb9e0, -v19
	v_fma_f16 v21, v23, 0x39e0, -v21
	;; [unrolled: 1-line block ×3, first 2 shown]
	v_fmamk_f16 v22, v17, 0x3574, v25
	v_fmamk_f16 v23, v56, 0x3a52, v53
	;; [unrolled: 1-line block ×4, first 2 shown]
	v_fma_f16 v13, v17, 0xb574, -v13
	v_fma_f16 v17, v29, 0xb9e0, -v27
	v_fmamk_f16 v24, v24, 0xbcab, v61
	v_fmamk_f16 v5, v5, 0xbcab, v8
	v_fmac_f16_e32 v65, 0x370e, v15
	v_fmac_f16_e32 v32, 0x370e, v15
	;; [unrolled: 1-line block ×3, first 2 shown]
	v_fmamk_f16 v15, v31, 0xbcab, v49
	v_fmamk_f16 v9, v9, 0xbcab, v6
	v_fma_f16 v27, v10, 0xb9e0, -v55
	v_fma_f16 v54, v64, 0xb574, -v60
	;; [unrolled: 1-line block ×6, first 2 shown]
	v_fmac_f16_e32 v63, 0x370e, v18
	v_fmac_f16_e32 v16, 0x370e, v18
	;; [unrolled: 1-line block ×6, first 2 shown]
	v_add_f16_e32 v18, v51, v5
	v_add_f16_e32 v19, v19, v24
	v_add_f16_e32 v20, v20, v5
	v_add_f16_e32 v21, v21, v24
	v_add_f16_e32 v2, v2, v5
	v_add_f16_e32 v5, v23, v15
	v_add_f16_e32 v23, v50, v9
	v_add_f16_e32 v17, v17, v15
	v_fmac_f16_e32 v54, 0x370e, v11
	v_fmac_f16_e32 v12, 0x370e, v11
	v_add_f16_e32 v11, v30, v24
	v_add_f16_e32 v24, v27, v9
	v_fmac_f16_e32 v25, 0x370e, v26
	v_add_f16_e32 v15, v29, v15
	v_add_f16_e32 v9, v10, v9
	v_pack_b32_f16 v6, v6, v49
	v_add_f16_e32 v26, v16, v19
	v_sub_f16_e32 v28, v21, v14
	v_add_f16_e32 v29, v7, v2
	v_add_f16_e32 v14, v14, v21
	v_sub_f16_e32 v2, v2, v7
	v_sub_f16_e32 v7, v19, v16
	v_add_f16_e32 v19, v22, v5
	v_add_f16_e32 v21, v13, v17
	v_sub_f16_e32 v13, v17, v13
	;; [unrolled: 4-line block ×3, first 2 shown]
	v_add_f16_e32 v16, v32, v20
	v_sub_f16_e32 v20, v23, v52
	v_sub_f16_e32 v30, v15, v25
	v_add_f16_e32 v15, v25, v15
	v_sub_f16_e32 v23, v9, v12
	v_add_f16_e32 v9, v12, v9
	v_sub_f16_e32 v12, v24, v54
	global_store_dword v[3:4], v6, off
	v_add_f16_e32 v6, v63, v11
	v_sub_f16_e32 v10, v18, v65
	v_sub_f16_e32 v11, v11, v63
	v_add_f16_e32 v18, v65, v18
	v_pack_b32_f16 v5, v17, v5
	v_pack_b32_f16 v13, v22, v13
	;; [unrolled: 1-line block ×13, first 2 shown]
	global_store_dword v[3:4], v5, off offset:1008
	global_store_dword v[3:4], v13, off offset:2016
	;; [unrolled: 1-line block ×6, first 2 shown]
	global_store_dword v[35:36], v8, off
	global_store_dword v[39:40], v11, off
	;; [unrolled: 1-line block ×7, first 2 shown]
.LBB0_31:
	s_endpgm
	.section	.rodata,"a",@progbits
	.p2align	6, 0x0
	.amdhsa_kernel fft_rtc_fwd_len1764_factors_2_2_3_3_7_7_wgs_126_tpt_126_halfLds_half_op_CI_CI_unitstride_sbrr_dirReg
		.amdhsa_group_segment_fixed_size 0
		.amdhsa_private_segment_fixed_size 0
		.amdhsa_kernarg_size 104
		.amdhsa_user_sgpr_count 6
		.amdhsa_user_sgpr_private_segment_buffer 1
		.amdhsa_user_sgpr_dispatch_ptr 0
		.amdhsa_user_sgpr_queue_ptr 0
		.amdhsa_user_sgpr_kernarg_segment_ptr 1
		.amdhsa_user_sgpr_dispatch_id 0
		.amdhsa_user_sgpr_flat_scratch_init 0
		.amdhsa_user_sgpr_private_segment_size 0
		.amdhsa_wavefront_size32 1
		.amdhsa_uses_dynamic_stack 0
		.amdhsa_system_sgpr_private_segment_wavefront_offset 0
		.amdhsa_system_sgpr_workgroup_id_x 1
		.amdhsa_system_sgpr_workgroup_id_y 0
		.amdhsa_system_sgpr_workgroup_id_z 0
		.amdhsa_system_sgpr_workgroup_info 0
		.amdhsa_system_vgpr_workitem_id 0
		.amdhsa_next_free_vgpr 76
		.amdhsa_next_free_sgpr 27
		.amdhsa_reserve_vcc 1
		.amdhsa_reserve_flat_scratch 0
		.amdhsa_float_round_mode_32 0
		.amdhsa_float_round_mode_16_64 0
		.amdhsa_float_denorm_mode_32 3
		.amdhsa_float_denorm_mode_16_64 3
		.amdhsa_dx10_clamp 1
		.amdhsa_ieee_mode 1
		.amdhsa_fp16_overflow 0
		.amdhsa_workgroup_processor_mode 1
		.amdhsa_memory_ordered 1
		.amdhsa_forward_progress 0
		.amdhsa_shared_vgpr_count 0
		.amdhsa_exception_fp_ieee_invalid_op 0
		.amdhsa_exception_fp_denorm_src 0
		.amdhsa_exception_fp_ieee_div_zero 0
		.amdhsa_exception_fp_ieee_overflow 0
		.amdhsa_exception_fp_ieee_underflow 0
		.amdhsa_exception_fp_ieee_inexact 0
		.amdhsa_exception_int_div_zero 0
	.end_amdhsa_kernel
	.text
.Lfunc_end0:
	.size	fft_rtc_fwd_len1764_factors_2_2_3_3_7_7_wgs_126_tpt_126_halfLds_half_op_CI_CI_unitstride_sbrr_dirReg, .Lfunc_end0-fft_rtc_fwd_len1764_factors_2_2_3_3_7_7_wgs_126_tpt_126_halfLds_half_op_CI_CI_unitstride_sbrr_dirReg
                                        ; -- End function
	.section	.AMDGPU.csdata,"",@progbits
; Kernel info:
; codeLenInByte = 10532
; NumSgprs: 29
; NumVgprs: 76
; ScratchSize: 0
; MemoryBound: 0
; FloatMode: 240
; IeeeMode: 1
; LDSByteSize: 0 bytes/workgroup (compile time only)
; SGPRBlocks: 3
; VGPRBlocks: 9
; NumSGPRsForWavesPerEU: 29
; NumVGPRsForWavesPerEU: 76
; Occupancy: 12
; WaveLimiterHint : 1
; COMPUTE_PGM_RSRC2:SCRATCH_EN: 0
; COMPUTE_PGM_RSRC2:USER_SGPR: 6
; COMPUTE_PGM_RSRC2:TRAP_HANDLER: 0
; COMPUTE_PGM_RSRC2:TGID_X_EN: 1
; COMPUTE_PGM_RSRC2:TGID_Y_EN: 0
; COMPUTE_PGM_RSRC2:TGID_Z_EN: 0
; COMPUTE_PGM_RSRC2:TIDIG_COMP_CNT: 0
	.text
	.p2alignl 6, 3214868480
	.fill 48, 4, 3214868480
	.type	__hip_cuid_8e4a06fac3b5c2e7,@object ; @__hip_cuid_8e4a06fac3b5c2e7
	.section	.bss,"aw",@nobits
	.globl	__hip_cuid_8e4a06fac3b5c2e7
__hip_cuid_8e4a06fac3b5c2e7:
	.byte	0                               ; 0x0
	.size	__hip_cuid_8e4a06fac3b5c2e7, 1

	.ident	"AMD clang version 19.0.0git (https://github.com/RadeonOpenCompute/llvm-project roc-6.4.0 25133 c7fe45cf4b819c5991fe208aaa96edf142730f1d)"
	.section	".note.GNU-stack","",@progbits
	.addrsig
	.addrsig_sym __hip_cuid_8e4a06fac3b5c2e7
	.amdgpu_metadata
---
amdhsa.kernels:
  - .args:
      - .actual_access:  read_only
        .address_space:  global
        .offset:         0
        .size:           8
        .value_kind:     global_buffer
      - .offset:         8
        .size:           8
        .value_kind:     by_value
      - .actual_access:  read_only
        .address_space:  global
        .offset:         16
        .size:           8
        .value_kind:     global_buffer
      - .actual_access:  read_only
        .address_space:  global
        .offset:         24
        .size:           8
        .value_kind:     global_buffer
      - .actual_access:  read_only
        .address_space:  global
        .offset:         32
        .size:           8
        .value_kind:     global_buffer
      - .offset:         40
        .size:           8
        .value_kind:     by_value
      - .actual_access:  read_only
        .address_space:  global
        .offset:         48
        .size:           8
        .value_kind:     global_buffer
      - .actual_access:  read_only
        .address_space:  global
        .offset:         56
        .size:           8
        .value_kind:     global_buffer
      - .offset:         64
        .size:           4
        .value_kind:     by_value
      - .actual_access:  read_only
        .address_space:  global
        .offset:         72
        .size:           8
        .value_kind:     global_buffer
      - .actual_access:  read_only
        .address_space:  global
        .offset:         80
        .size:           8
        .value_kind:     global_buffer
      - .actual_access:  read_only
        .address_space:  global
        .offset:         88
        .size:           8
        .value_kind:     global_buffer
      - .actual_access:  write_only
        .address_space:  global
        .offset:         96
        .size:           8
        .value_kind:     global_buffer
    .group_segment_fixed_size: 0
    .kernarg_segment_align: 8
    .kernarg_segment_size: 104
    .language:       OpenCL C
    .language_version:
      - 2
      - 0
    .max_flat_workgroup_size: 126
    .name:           fft_rtc_fwd_len1764_factors_2_2_3_3_7_7_wgs_126_tpt_126_halfLds_half_op_CI_CI_unitstride_sbrr_dirReg
    .private_segment_fixed_size: 0
    .sgpr_count:     29
    .sgpr_spill_count: 0
    .symbol:         fft_rtc_fwd_len1764_factors_2_2_3_3_7_7_wgs_126_tpt_126_halfLds_half_op_CI_CI_unitstride_sbrr_dirReg.kd
    .uniform_work_group_size: 1
    .uses_dynamic_stack: false
    .vgpr_count:     76
    .vgpr_spill_count: 0
    .wavefront_size: 32
    .workgroup_processor_mode: 1
amdhsa.target:   amdgcn-amd-amdhsa--gfx1030
amdhsa.version:
  - 1
  - 2
...

	.end_amdgpu_metadata
